;; amdgpu-corpus repo=ROCm/rocFFT kind=compiled arch=gfx906 opt=O3
	.text
	.amdgcn_target "amdgcn-amd-amdhsa--gfx906"
	.amdhsa_code_object_version 6
	.protected	fft_rtc_fwd_len900_factors_10_10_3_3_wgs_180_tpt_90_halfLds_dp_ip_CI_sbrr_dirReg ; -- Begin function fft_rtc_fwd_len900_factors_10_10_3_3_wgs_180_tpt_90_halfLds_dp_ip_CI_sbrr_dirReg
	.globl	fft_rtc_fwd_len900_factors_10_10_3_3_wgs_180_tpt_90_halfLds_dp_ip_CI_sbrr_dirReg
	.p2align	8
	.type	fft_rtc_fwd_len900_factors_10_10_3_3_wgs_180_tpt_90_halfLds_dp_ip_CI_sbrr_dirReg,@function
fft_rtc_fwd_len900_factors_10_10_3_3_wgs_180_tpt_90_halfLds_dp_ip_CI_sbrr_dirReg: ; @fft_rtc_fwd_len900_factors_10_10_3_3_wgs_180_tpt_90_halfLds_dp_ip_CI_sbrr_dirReg
; %bb.0:
	s_load_dwordx2 s[2:3], s[4:5], 0x18
	s_load_dwordx4 s[8:11], s[4:5], 0x0
	s_load_dwordx2 s[14:15], s[4:5], 0x50
	v_mul_u32_u24_e32 v1, 0x2d9, v0
	v_lshrrev_b32_e32 v42, 16, v1
	s_waitcnt lgkmcnt(0)
	s_load_dwordx2 s[12:13], s[2:3], 0x0
	v_cmp_lt_u64_e64 s[0:1], s[10:11], 2
	v_mov_b32_e32 v3, 0
	v_mov_b32_e32 v1, 0
	v_lshl_add_u32 v5, s6, 1, v42
	v_mov_b32_e32 v6, v3
	s_and_b64 vcc, exec, s[0:1]
	v_mov_b32_e32 v2, 0
	s_cbranch_vccnz .LBB0_8
; %bb.1:
	s_load_dwordx2 s[0:1], s[4:5], 0x10
	s_add_u32 s6, s2, 8
	s_addc_u32 s7, s3, 0
	v_mov_b32_e32 v1, 0
	v_mov_b32_e32 v2, 0
	s_waitcnt lgkmcnt(0)
	s_add_u32 s16, s0, 8
	s_addc_u32 s17, s1, 0
	s_mov_b64 s[18:19], 1
.LBB0_2:                                ; =>This Inner Loop Header: Depth=1
	s_load_dwordx2 s[20:21], s[16:17], 0x0
                                        ; implicit-def: $vgpr7_vgpr8
	s_waitcnt lgkmcnt(0)
	v_or_b32_e32 v4, s21, v6
	v_cmp_ne_u64_e32 vcc, 0, v[3:4]
	s_and_saveexec_b64 s[0:1], vcc
	s_xor_b64 s[22:23], exec, s[0:1]
	s_cbranch_execz .LBB0_4
; %bb.3:                                ;   in Loop: Header=BB0_2 Depth=1
	v_cvt_f32_u32_e32 v4, s20
	v_cvt_f32_u32_e32 v7, s21
	s_sub_u32 s0, 0, s20
	s_subb_u32 s1, 0, s21
	v_mac_f32_e32 v4, 0x4f800000, v7
	v_rcp_f32_e32 v4, v4
	v_mul_f32_e32 v4, 0x5f7ffffc, v4
	v_mul_f32_e32 v7, 0x2f800000, v4
	v_trunc_f32_e32 v7, v7
	v_mac_f32_e32 v4, 0xcf800000, v7
	v_cvt_u32_f32_e32 v7, v7
	v_cvt_u32_f32_e32 v4, v4
	v_mul_lo_u32 v8, s0, v7
	v_mul_hi_u32 v9, s0, v4
	v_mul_lo_u32 v11, s1, v4
	v_mul_lo_u32 v10, s0, v4
	v_add_u32_e32 v8, v9, v8
	v_add_u32_e32 v8, v8, v11
	v_mul_hi_u32 v9, v4, v10
	v_mul_lo_u32 v11, v4, v8
	v_mul_hi_u32 v13, v4, v8
	v_mul_hi_u32 v12, v7, v10
	v_mul_lo_u32 v10, v7, v10
	v_mul_hi_u32 v14, v7, v8
	v_add_co_u32_e32 v9, vcc, v9, v11
	v_addc_co_u32_e32 v11, vcc, 0, v13, vcc
	v_mul_lo_u32 v8, v7, v8
	v_add_co_u32_e32 v9, vcc, v9, v10
	v_addc_co_u32_e32 v9, vcc, v11, v12, vcc
	v_addc_co_u32_e32 v10, vcc, 0, v14, vcc
	v_add_co_u32_e32 v8, vcc, v9, v8
	v_addc_co_u32_e32 v9, vcc, 0, v10, vcc
	v_add_co_u32_e32 v4, vcc, v4, v8
	v_addc_co_u32_e32 v7, vcc, v7, v9, vcc
	v_mul_lo_u32 v8, s0, v7
	v_mul_hi_u32 v9, s0, v4
	v_mul_lo_u32 v10, s1, v4
	v_mul_lo_u32 v11, s0, v4
	v_add_u32_e32 v8, v9, v8
	v_add_u32_e32 v8, v8, v10
	v_mul_lo_u32 v12, v4, v8
	v_mul_hi_u32 v13, v4, v11
	v_mul_hi_u32 v14, v4, v8
	v_mul_hi_u32 v10, v7, v11
	v_mul_lo_u32 v11, v7, v11
	v_mul_hi_u32 v9, v7, v8
	v_add_co_u32_e32 v12, vcc, v13, v12
	v_addc_co_u32_e32 v13, vcc, 0, v14, vcc
	v_mul_lo_u32 v8, v7, v8
	v_add_co_u32_e32 v11, vcc, v12, v11
	v_addc_co_u32_e32 v10, vcc, v13, v10, vcc
	v_addc_co_u32_e32 v9, vcc, 0, v9, vcc
	v_add_co_u32_e32 v8, vcc, v10, v8
	v_addc_co_u32_e32 v9, vcc, 0, v9, vcc
	v_add_co_u32_e32 v4, vcc, v4, v8
	v_addc_co_u32_e32 v9, vcc, v7, v9, vcc
	v_mad_u64_u32 v[7:8], s[0:1], v5, v9, 0
	v_mul_hi_u32 v10, v5, v4
	v_add_co_u32_e32 v11, vcc, v10, v7
	v_addc_co_u32_e32 v12, vcc, 0, v8, vcc
	v_mad_u64_u32 v[7:8], s[0:1], v6, v4, 0
	v_mad_u64_u32 v[9:10], s[0:1], v6, v9, 0
	v_add_co_u32_e32 v4, vcc, v11, v7
	v_addc_co_u32_e32 v4, vcc, v12, v8, vcc
	v_addc_co_u32_e32 v7, vcc, 0, v10, vcc
	v_add_co_u32_e32 v4, vcc, v4, v9
	v_addc_co_u32_e32 v9, vcc, 0, v7, vcc
	v_mul_lo_u32 v10, s21, v4
	v_mul_lo_u32 v11, s20, v9
	v_mad_u64_u32 v[7:8], s[0:1], s20, v4, 0
	v_add3_u32 v8, v8, v11, v10
	v_sub_u32_e32 v10, v6, v8
	v_mov_b32_e32 v11, s21
	v_sub_co_u32_e32 v7, vcc, v5, v7
	v_subb_co_u32_e64 v10, s[0:1], v10, v11, vcc
	v_subrev_co_u32_e64 v11, s[0:1], s20, v7
	v_subbrev_co_u32_e64 v10, s[0:1], 0, v10, s[0:1]
	v_cmp_le_u32_e64 s[0:1], s21, v10
	v_cndmask_b32_e64 v12, 0, -1, s[0:1]
	v_cmp_le_u32_e64 s[0:1], s20, v11
	v_cndmask_b32_e64 v11, 0, -1, s[0:1]
	v_cmp_eq_u32_e64 s[0:1], s21, v10
	v_cndmask_b32_e64 v10, v12, v11, s[0:1]
	v_add_co_u32_e64 v11, s[0:1], 2, v4
	v_addc_co_u32_e64 v12, s[0:1], 0, v9, s[0:1]
	v_add_co_u32_e64 v13, s[0:1], 1, v4
	v_addc_co_u32_e64 v14, s[0:1], 0, v9, s[0:1]
	v_subb_co_u32_e32 v8, vcc, v6, v8, vcc
	v_cmp_ne_u32_e64 s[0:1], 0, v10
	v_cmp_le_u32_e32 vcc, s21, v8
	v_cndmask_b32_e64 v10, v14, v12, s[0:1]
	v_cndmask_b32_e64 v12, 0, -1, vcc
	v_cmp_le_u32_e32 vcc, s20, v7
	v_cndmask_b32_e64 v7, 0, -1, vcc
	v_cmp_eq_u32_e32 vcc, s21, v8
	v_cndmask_b32_e32 v7, v12, v7, vcc
	v_cmp_ne_u32_e32 vcc, 0, v7
	v_cndmask_b32_e64 v7, v13, v11, s[0:1]
	v_cndmask_b32_e32 v8, v9, v10, vcc
	v_cndmask_b32_e32 v7, v4, v7, vcc
.LBB0_4:                                ;   in Loop: Header=BB0_2 Depth=1
	s_andn2_saveexec_b64 s[0:1], s[22:23]
	s_cbranch_execz .LBB0_6
; %bb.5:                                ;   in Loop: Header=BB0_2 Depth=1
	v_cvt_f32_u32_e32 v4, s20
	s_sub_i32 s22, 0, s20
	v_rcp_iflag_f32_e32 v4, v4
	v_mul_f32_e32 v4, 0x4f7ffffe, v4
	v_cvt_u32_f32_e32 v4, v4
	v_mul_lo_u32 v7, s22, v4
	v_mul_hi_u32 v7, v4, v7
	v_add_u32_e32 v4, v4, v7
	v_mul_hi_u32 v4, v5, v4
	v_mul_lo_u32 v7, v4, s20
	v_add_u32_e32 v8, 1, v4
	v_sub_u32_e32 v7, v5, v7
	v_subrev_u32_e32 v9, s20, v7
	v_cmp_le_u32_e32 vcc, s20, v7
	v_cndmask_b32_e32 v7, v7, v9, vcc
	v_cndmask_b32_e32 v4, v4, v8, vcc
	v_add_u32_e32 v8, 1, v4
	v_cmp_le_u32_e32 vcc, s20, v7
	v_cndmask_b32_e32 v7, v4, v8, vcc
	v_mov_b32_e32 v8, v3
.LBB0_6:                                ;   in Loop: Header=BB0_2 Depth=1
	s_or_b64 exec, exec, s[0:1]
	v_mul_lo_u32 v4, v8, s20
	v_mul_lo_u32 v11, v7, s21
	v_mad_u64_u32 v[9:10], s[0:1], v7, s20, 0
	s_load_dwordx2 s[0:1], s[6:7], 0x0
	s_add_u32 s18, s18, 1
	v_add3_u32 v4, v10, v11, v4
	v_sub_co_u32_e32 v5, vcc, v5, v9
	v_subb_co_u32_e32 v4, vcc, v6, v4, vcc
	s_waitcnt lgkmcnt(0)
	v_mul_lo_u32 v4, s0, v4
	v_mul_lo_u32 v6, s1, v5
	v_mad_u64_u32 v[1:2], s[0:1], s0, v5, v[1:2]
	s_addc_u32 s19, s19, 0
	s_add_u32 s6, s6, 8
	v_add3_u32 v2, v6, v2, v4
	v_mov_b32_e32 v4, s10
	v_mov_b32_e32 v5, s11
	s_addc_u32 s7, s7, 0
	v_cmp_ge_u64_e32 vcc, s[18:19], v[4:5]
	s_add_u32 s16, s16, 8
	s_addc_u32 s17, s17, 0
	s_cbranch_vccnz .LBB0_9
; %bb.7:                                ;   in Loop: Header=BB0_2 Depth=1
	v_mov_b32_e32 v5, v7
	v_mov_b32_e32 v6, v8
	s_branch .LBB0_2
.LBB0_8:
	v_mov_b32_e32 v8, v6
	v_mov_b32_e32 v7, v5
.LBB0_9:
	s_lshl_b64 s[0:1], s[10:11], 3
	s_add_u32 s0, s2, s0
	s_addc_u32 s1, s3, s1
	s_load_dwordx2 s[2:3], s[0:1], 0x0
	s_load_dwordx2 s[6:7], s[4:5], 0x20
                                        ; implicit-def: $vgpr74
                                        ; implicit-def: $vgpr75
                                        ; implicit-def: $vgpr73
	s_waitcnt lgkmcnt(0)
	v_mad_u64_u32 v[1:2], s[0:1], s2, v7, v[1:2]
	s_mov_b32 s0, 0x2d82d83
	v_mul_lo_u32 v3, s2, v8
	v_mul_lo_u32 v4, s3, v7
	v_mul_hi_u32 v5, v0, s0
	v_cmp_gt_u64_e32 vcc, s[6:7], v[7:8]
	v_cmp_le_u64_e64 s[0:1], s[6:7], v[7:8]
	v_add3_u32 v2, v4, v2, v3
	v_mul_u32_u24_e32 v3, 0x5a, v5
	v_sub_u32_e32 v72, v0, v3
	s_and_saveexec_b64 s[2:3], s[0:1]
	s_xor_b64 s[0:1], exec, s[2:3]
; %bb.10:
	v_add_u32_e32 v74, 0x5a, v72
	v_add_u32_e32 v75, 0xb4, v72
	;; [unrolled: 1-line block ×3, first 2 shown]
; %bb.11:
	s_or_saveexec_b64 s[2:3], s[0:1]
	v_lshlrev_b64 v[40:41], 4, v[1:2]
                                        ; implicit-def: $vgpr2_vgpr3
                                        ; implicit-def: $vgpr22_vgpr23
                                        ; implicit-def: $vgpr6_vgpr7
                                        ; implicit-def: $vgpr26_vgpr27
                                        ; implicit-def: $vgpr10_vgpr11
                                        ; implicit-def: $vgpr34_vgpr35
                                        ; implicit-def: $vgpr14_vgpr15
                                        ; implicit-def: $vgpr30_vgpr31
                                        ; implicit-def: $vgpr18_vgpr19
                                        ; implicit-def: $vgpr38_vgpr39
	s_xor_b64 exec, exec, s[2:3]
	s_cbranch_execz .LBB0_13
; %bb.12:
	v_mad_u64_u32 v[0:1], s[0:1], s12, v72, 0
	v_add_u32_e32 v74, 0x5a, v72
	v_mov_b32_e32 v4, s15
	v_mad_u64_u32 v[1:2], s[0:1], s13, v72, v[1:2]
	v_mad_u64_u32 v[2:3], s[0:1], s12, v74, 0
	v_add_co_u32_e64 v8, s[0:1], s14, v40
	v_addc_co_u32_e64 v9, s[0:1], v4, v41, s[0:1]
	v_mad_u64_u32 v[3:4], s[0:1], s13, v74, v[3:4]
	v_add_u32_e32 v75, 0xb4, v72
	v_mad_u64_u32 v[4:5], s[0:1], s12, v75, 0
	v_lshlrev_b64 v[0:1], 4, v[0:1]
	v_add_u32_e32 v73, 0x10e, v72
	v_add_co_u32_e64 v43, s[0:1], v8, v0
	v_addc_co_u32_e64 v44, s[0:1], v9, v1, s[0:1]
	v_lshlrev_b64 v[0:1], 4, v[2:3]
	v_mov_b32_e32 v2, v5
	v_mad_u64_u32 v[2:3], s[0:1], s13, v75, v[2:3]
	v_mad_u64_u32 v[6:7], s[0:1], s12, v73, 0
	v_add_co_u32_e64 v45, s[0:1], v8, v0
	v_mov_b32_e32 v5, v2
	v_mov_b32_e32 v2, v7
	v_addc_co_u32_e64 v46, s[0:1], v9, v1, s[0:1]
	v_lshlrev_b64 v[0:1], 4, v[4:5]
	v_mad_u64_u32 v[2:3], s[0:1], s13, v73, v[2:3]
	v_add_u32_e32 v5, 0x168, v72
	v_mad_u64_u32 v[3:4], s[0:1], s12, v5, 0
	v_add_co_u32_e64 v47, s[0:1], v8, v0
	v_mov_b32_e32 v7, v2
	v_mov_b32_e32 v2, v4
	v_addc_co_u32_e64 v48, s[0:1], v9, v1, s[0:1]
	v_lshlrev_b64 v[0:1], 4, v[6:7]
	v_mad_u64_u32 v[4:5], s[0:1], s13, v5, v[2:3]
	v_add_u32_e32 v7, 0x1c2, v72
	v_mad_u64_u32 v[5:6], s[0:1], s12, v7, 0
	v_add_co_u32_e64 v49, s[0:1], v8, v0
	v_mov_b32_e32 v2, v6
	v_addc_co_u32_e64 v50, s[0:1], v9, v1, s[0:1]
	v_lshlrev_b64 v[0:1], 4, v[3:4]
	v_mad_u64_u32 v[2:3], s[0:1], s13, v7, v[2:3]
	v_add_u32_e32 v7, 0x21c, v72
	v_mad_u64_u32 v[3:4], s[0:1], s12, v7, 0
	v_add_co_u32_e64 v51, s[0:1], v8, v0
	v_mov_b32_e32 v6, v2
	v_mov_b32_e32 v2, v4
	v_addc_co_u32_e64 v52, s[0:1], v9, v1, s[0:1]
	v_lshlrev_b64 v[0:1], 4, v[5:6]
	v_mad_u64_u32 v[4:5], s[0:1], s13, v7, v[2:3]
	v_add_u32_e32 v7, 0x276, v72
	v_mad_u64_u32 v[5:6], s[0:1], s12, v7, 0
	v_add_co_u32_e64 v53, s[0:1], v8, v0
	;; [unrolled: 15-line block ×3, first 2 shown]
	v_mov_b32_e32 v2, v6
	v_addc_co_u32_e64 v58, s[0:1], v9, v1, s[0:1]
	v_lshlrev_b64 v[0:1], 4, v[3:4]
	v_mad_u64_u32 v[2:3], s[0:1], s13, v7, v[2:3]
	v_add_co_u32_e64 v59, s[0:1], v8, v0
	v_mov_b32_e32 v6, v2
	v_addc_co_u32_e64 v60, s[0:1], v9, v1, s[0:1]
	v_lshlrev_b64 v[0:1], 4, v[5:6]
	v_add_co_u32_e64 v61, s[0:1], v8, v0
	v_addc_co_u32_e64 v62, s[0:1], v9, v1, s[0:1]
	global_load_dwordx4 v[36:39], v[43:44], off
	global_load_dwordx4 v[16:19], v[45:46], off
	;; [unrolled: 1-line block ×10, first 2 shown]
.LBB0_13:
	s_or_b64 exec, exec, s[2:3]
	s_waitcnt vmcnt(3)
	v_add_f64 v[43:44], v[24:25], v[32:33]
	s_waitcnt vmcnt(1)
	v_add_f64 v[45:46], v[20:21], v[28:29]
	v_add_f64 v[47:48], v[26:27], v[34:35]
	;; [unrolled: 1-line block ×3, first 2 shown]
	v_add_f64 v[57:58], v[30:31], -v[22:23]
	s_mov_b32 s10, 0x134454ff
	s_mov_b32 s11, 0x3fee6f0e
	;; [unrolled: 1-line block ×3, first 2 shown]
	v_fma_f64 v[43:44], v[43:44], -0.5, v[36:37]
	s_mov_b32 s2, s10
	v_add_f64 v[51:52], v[28:29], v[36:37]
	v_add_f64 v[53:54], v[28:29], -v[32:33]
	v_add_f64 v[55:56], v[20:21], -v[24:25]
	;; [unrolled: 1-line block ×3, first 2 shown]
	v_fma_f64 v[36:37], v[45:46], -0.5, v[36:37]
	v_fma_f64 v[45:46], v[47:48], -0.5, v[38:39]
	v_fma_f64 v[61:62], v[57:58], s[10:11], v[43:44]
	v_fma_f64 v[43:44], v[57:58], s[2:3], v[43:44]
	v_fma_f64 v[47:48], v[49:50], -0.5, v[38:39]
	v_add_f64 v[38:39], v[30:31], v[38:39]
	s_mov_b32 s6, 0x4755a5e
	s_mov_b32 s7, 0x3fe2cf23
	;; [unrolled: 1-line block ×4, first 2 shown]
	v_add_f64 v[49:50], v[55:56], v[53:54]
	v_fma_f64 v[53:54], v[59:60], s[6:7], v[61:62]
	v_fma_f64 v[43:44], v[59:60], s[4:5], v[43:44]
	v_add_f64 v[55:56], v[32:33], -v[28:29]
	v_add_f64 v[61:62], v[24:25], -v[20:21]
	v_fma_f64 v[63:64], v[59:60], s[2:3], v[36:37]
	v_fma_f64 v[36:37], v[59:60], s[10:11], v[36:37]
	v_add_f64 v[51:52], v[32:33], v[51:52]
	v_add_f64 v[38:39], v[34:35], v[38:39]
	v_add_f64 v[32:33], v[32:33], -v[24:25]
	s_mov_b32 s16, 0x372fe950
	s_mov_b32 s17, 0x3fd3c6ef
	v_fma_f64 v[53:54], v[49:50], s[16:17], v[53:54]
	v_fma_f64 v[43:44], v[49:50], s[16:17], v[43:44]
	v_add_f64 v[49:50], v[61:62], v[55:56]
	v_add_f64 v[55:56], v[30:31], -v[34:35]
	v_add_f64 v[59:60], v[22:23], -v[26:27]
	;; [unrolled: 1-line block ×3, first 2 shown]
	v_fma_f64 v[61:62], v[57:58], s[6:7], v[63:64]
	v_fma_f64 v[36:37], v[57:58], s[4:5], v[36:37]
	v_add_f64 v[57:58], v[26:27], -v[22:23]
	v_add_f64 v[26:27], v[26:27], v[38:39]
	v_fma_f64 v[38:39], v[32:33], s[10:11], v[47:48]
	v_fma_f64 v[47:48], v[32:33], s[2:3], v[47:48]
	v_add_f64 v[30:31], v[34:35], -v[30:31]
	v_add_f64 v[34:35], v[59:60], v[55:56]
	v_fma_f64 v[55:56], v[28:29], s[2:3], v[45:46]
	v_fma_f64 v[45:46], v[28:29], s[10:11], v[45:46]
	v_add_f64 v[24:25], v[24:25], v[51:52]
	v_add_f64 v[51:52], v[4:5], v[8:9]
	v_fma_f64 v[38:39], v[28:29], s[4:5], v[38:39]
	v_fma_f64 v[28:29], v[28:29], s[6:7], v[47:48]
	s_waitcnt vmcnt(0)
	v_add_f64 v[47:48], v[0:1], v[12:13]
	v_add_f64 v[30:31], v[57:58], v[30:31]
	v_fma_f64 v[55:56], v[32:33], s[4:5], v[55:56]
	v_fma_f64 v[32:33], v[32:33], s[6:7], v[45:46]
	v_add_f64 v[20:21], v[20:21], v[24:25]
	v_fma_f64 v[24:25], v[49:50], s[16:17], v[61:62]
	v_fma_f64 v[45:46], v[51:52], -0.5, v[16:17]
	v_add_f64 v[51:52], v[14:15], -v[2:3]
	v_fma_f64 v[36:37], v[49:50], s[16:17], v[36:37]
	v_add_f64 v[49:50], v[22:23], v[26:27]
	v_add_f64 v[22:23], v[10:11], -v[6:7]
	v_fma_f64 v[26:27], v[47:48], -0.5, v[16:17]
	v_fma_f64 v[55:56], v[34:35], s[16:17], v[55:56]
	v_fma_f64 v[57:58], v[34:35], s[16:17], v[32:33]
	;; [unrolled: 1-line block ×5, first 2 shown]
	v_add_f64 v[30:31], v[12:13], -v[8:9]
	v_add_f64 v[32:33], v[0:1], -v[4:5]
	v_fma_f64 v[45:46], v[51:52], s[2:3], v[45:46]
	v_add_f64 v[47:48], v[8:9], -v[12:13]
	v_add_f64 v[59:60], v[4:5], -v[0:1]
	v_fma_f64 v[61:62], v[22:23], s[2:3], v[26:27]
	v_fma_f64 v[26:27], v[22:23], s[10:11], v[26:27]
	v_add_f64 v[63:64], v[6:7], v[10:11]
	v_add_f64 v[65:66], v[2:3], v[14:15]
	v_fma_f64 v[28:29], v[22:23], s[6:7], v[28:29]
	v_add_f64 v[30:31], v[32:33], v[30:31]
	v_fma_f64 v[22:23], v[22:23], s[4:5], v[45:46]
	v_add_f64 v[32:33], v[59:60], v[47:48]
	v_fma_f64 v[45:46], v[51:52], s[6:7], v[61:62]
	v_add_f64 v[16:17], v[12:13], v[16:17]
	v_fma_f64 v[26:27], v[51:52], s[4:5], v[26:27]
	v_fma_f64 v[47:48], v[63:64], -0.5, v[18:19]
	v_fma_f64 v[51:52], v[65:66], -0.5, v[18:19]
	v_fma_f64 v[28:29], v[30:31], s[16:17], v[28:29]
	v_fma_f64 v[22:23], v[30:31], s[16:17], v[22:23]
	v_add_f64 v[12:13], v[12:13], -v[0:1]
	v_fma_f64 v[30:31], v[32:33], s[16:17], v[45:46]
	v_add_f64 v[45:46], v[8:9], -v[4:5]
	v_add_f64 v[18:19], v[14:15], v[18:19]
	v_add_f64 v[8:9], v[8:9], v[16:17]
	v_add_f64 v[59:60], v[14:15], -v[10:11]
	v_add_f64 v[61:62], v[2:3], -v[6:7]
	v_fma_f64 v[26:27], v[32:33], s[16:17], v[26:27]
	v_fma_f64 v[32:33], v[12:13], s[2:3], v[47:48]
	v_add_f64 v[14:15], v[10:11], -v[14:15]
	v_fma_f64 v[16:17], v[45:46], s[10:11], v[51:52]
	v_add_f64 v[63:64], v[6:7], -v[2:3]
	v_fma_f64 v[51:52], v[45:46], s[2:3], v[51:52]
	v_add_f64 v[10:11], v[10:11], v[18:19]
	v_fma_f64 v[47:48], v[12:13], s[10:11], v[47:48]
	v_add_f64 v[4:5], v[4:5], v[8:9]
	v_add_f64 v[18:19], v[61:62], v[59:60]
	s_mov_b32 s18, 0x9b97f4a8
	v_fma_f64 v[8:9], v[12:13], s[4:5], v[16:17]
	v_fma_f64 v[16:17], v[45:46], s[4:5], v[32:33]
	v_and_b32_e32 v32, 1, v42
	v_add_f64 v[14:15], v[63:64], v[14:15]
	v_fma_f64 v[12:13], v[12:13], s[6:7], v[51:52]
	v_mov_b32_e32 v33, 0x384
	v_cmp_eq_u32_e64 s[0:1], 1, v32
	v_cndmask_b32_e64 v42, 0, v33, s[0:1]
	v_add_f64 v[32:33], v[0:1], v[4:5]
	v_add_f64 v[0:1], v[6:7], v[10:11]
	v_fma_f64 v[6:7], v[45:46], s[6:7], v[47:48]
	s_mov_b32 s19, 0x3fe9e377
	v_fma_f64 v[4:5], v[18:19], s[16:17], v[16:17]
	v_mul_f64 v[10:11], v[28:29], s[18:19]
	v_fma_f64 v[8:9], v[14:15], s[16:17], v[8:9]
	v_fma_f64 v[12:13], v[14:15], s[16:17], v[12:13]
	v_mul_f64 v[14:15], v[30:31], s[16:17]
	v_mul_f64 v[16:17], v[26:27], s[16:17]
	v_fma_f64 v[6:7], v[18:19], s[16:17], v[6:7]
	v_add_f64 v[45:46], v[2:3], v[0:1]
	v_mul_f64 v[2:3], v[22:23], s[18:19]
	v_fma_f64 v[18:19], v[4:5], s[6:7], v[10:11]
	v_mul_f64 v[10:11], v[28:29], s[4:5]
	v_add_f64 v[0:1], v[32:33], v[20:21]
	v_fma_f64 v[28:29], v[8:9], s[10:11], v[14:15]
	v_fma_f64 v[47:48], v[12:13], s[10:11], -v[16:17]
	v_mul_f64 v[14:15], v[30:31], s[2:3]
	v_mul_f64 v[12:13], v[12:13], s[16:17]
	;; [unrolled: 1-line block ×3, first 2 shown]
	v_fma_f64 v[30:31], v[6:7], s[6:7], -v[2:3]
	v_fma_f64 v[51:52], v[4:5], s[18:19], v[10:11]
	v_add_f64 v[2:3], v[53:54], v[18:19]
	v_add_f64 v[4:5], v[24:25], v[28:29]
	;; [unrolled: 1-line block ×3, first 2 shown]
	v_fma_f64 v[59:60], v[8:9], s[16:17], v[14:15]
	v_fma_f64 v[61:62], v[26:27], s[2:3], -v[12:13]
	v_fma_f64 v[63:64], v[22:23], s[4:5], -v[16:17]
	v_add_f64 v[8:9], v[43:44], v[30:31]
	v_add_f64 v[10:11], v[20:21], -v[32:33]
	v_add_f64 v[16:17], v[53:54], -v[18:19]
	;; [unrolled: 1-line block ×5, first 2 shown]
	v_lshlrev_b32_e32 v76, 3, v42
	v_add_f64 v[12:13], v[45:46], v[49:50]
	v_add_f64 v[14:15], v[55:56], v[51:52]
	v_mul_u32_u24_e32 v43, 10, v72
	v_add_u32_e32 v42, 0, v76
	v_add_f64 v[20:21], v[34:35], v[59:60]
	v_add_f64 v[22:23], v[38:39], v[61:62]
	v_add_f64 v[30:31], v[49:50], -v[45:46]
	v_lshl_add_u32 v46, v43, 3, v42
	s_movk_i32 s0, 0xffb8
	v_add_f64 v[28:29], v[57:58], v[63:64]
	v_mad_i32_i24 v78, v72, s0, v46
	s_movk_i32 s0, 0xcd
	v_add_f64 v[32:33], v[55:56], -v[51:52]
	v_add_f64 v[34:35], v[34:35], -v[59:60]
	ds_write_b128 v46, v[0:3]
	ds_write_b128 v46, v[4:7] offset:16
	ds_write_b128 v46, v[8:11] offset:32
	;; [unrolled: 1-line block ×4, first 2 shown]
	v_mul_lo_u16_sdwa v10, v72, s0 dst_sel:DWORD dst_unused:UNUSED_PAD src0_sel:BYTE_0 src1_sel:DWORD
	v_add_f64 v[36:37], v[38:39], -v[61:62]
	v_add_f64 v[38:39], v[57:58], -v[63:64]
	v_lshrrev_b16_e32 v89, 11, v10
	v_mul_lo_u16_e32 v10, 10, v89
	v_sub_u16_e32 v88, v72, v10
	v_mov_b32_e32 v10, 9
	v_lshl_add_u32 v79, v72, 3, v42
	v_add_u32_e32 v70, 0x800, v78
	v_add_u32_e32 v60, 0x1000, v78
	;; [unrolled: 1-line block ×3, first 2 shown]
	v_mul_u32_u24_sdwa v10, v88, v10 dst_sel:DWORD dst_unused:UNUSED_PAD src0_sel:BYTE_0 src1_sel:DWORD
	s_waitcnt lgkmcnt(0)
	s_barrier
	v_lshl_add_u32 v80, v74, 3, v42
	v_lshl_add_u32 v81, v75, 3, v42
	;; [unrolled: 1-line block ×3, first 2 shown]
	ds_read_b64 v[0:1], v79
	ds_read_b64 v[64:65], v80
	;; [unrolled: 1-line block ×4, first 2 shown]
	ds_read2_b64 v[2:5], v70 offset0:104 offset1:194
	ds_read2_b64 v[6:9], v60 offset0:28 offset1:118
	;; [unrolled: 1-line block ×3, first 2 shown]
	s_waitcnt lgkmcnt(0)
	s_barrier
	ds_write_b128 v46, v[12:15]
	ds_write_b128 v46, v[20:23] offset:16
	ds_write_b128 v46, v[28:31] offset:32
	;; [unrolled: 1-line block ×4, first 2 shown]
	v_lshlrev_b32_e32 v38, 4, v10
	s_waitcnt lgkmcnt(0)
	s_barrier
	global_load_dwordx4 v[10:13], v38, s[8:9] offset:48
	global_load_dwordx4 v[14:17], v38, s[8:9] offset:64
	;; [unrolled: 1-line block ×8, first 2 shown]
	global_load_dwordx4 v[56:59], v38, s[8:9]
	ds_read2_b64 v[50:53], v70 offset0:104 offset1:194
	ds_read2_b64 v[60:63], v60 offset0:28 offset1:118
	s_movk_i32 s0, 0x320
	v_mad_u32_u24 v89, v89, s0, 0
	v_cmp_gt_u32_e64 s[0:1], 30, v72
	ds_read_b64 v[84:85], v81
	s_waitcnt vmcnt(8) lgkmcnt(2)
	v_mul_f64 v[38:39], v[50:51], v[12:13]
	v_mul_f64 v[12:13], v[2:3], v[12:13]
	s_waitcnt vmcnt(7)
	v_mul_f64 v[68:69], v[52:53], v[16:17]
	v_mul_f64 v[82:83], v[4:5], v[16:17]
	v_fma_f64 v[16:17], v[2:3], v[10:11], -v[38:39]
	v_fma_f64 v[12:13], v[50:51], v[10:11], v[12:13]
	v_fma_f64 v[10:11], v[4:5], v[14:15], -v[68:69]
	s_waitcnt vmcnt(6) lgkmcnt(1)
	v_mul_f64 v[2:3], v[60:61], v[20:21]
	ds_read_b64 v[38:39], v77
	v_mul_f64 v[4:5], v[6:7], v[20:21]
	s_waitcnt vmcnt(5)
	v_mul_f64 v[50:51], v[62:63], v[24:25]
	v_mul_f64 v[68:69], v[8:9], v[24:25]
	v_fma_f64 v[20:21], v[52:53], v[14:15], v[82:83]
	s_waitcnt vmcnt(4) lgkmcnt(0)
	v_mul_f64 v[86:87], v[38:39], v[28:29]
	v_mul_f64 v[28:29], v[66:67], v[28:29]
	v_fma_f64 v[24:25], v[6:7], v[18:19], -v[2:3]
	v_fma_f64 v[18:19], v[60:61], v[18:19], v[4:5]
	ds_read2_b64 v[2:5], v71 offset0:80 offset1:170
	v_fma_f64 v[6:7], v[8:9], v[22:23], -v[50:51]
	v_fma_f64 v[14:15], v[62:63], v[22:23], v[68:69]
	v_fma_f64 v[8:9], v[66:67], v[26:27], -v[86:87]
	v_fma_f64 v[22:23], v[38:39], v[26:27], v[28:29]
	s_waitcnt vmcnt(3)
	v_mul_f64 v[28:29], v[84:85], v[32:33]
	s_waitcnt vmcnt(1) lgkmcnt(0)
	v_mul_f64 v[60:61], v[4:5], v[36:37]
	v_mul_f64 v[36:37], v[44:45], v[36:37]
	ds_read_b64 v[26:27], v80
	ds_read_b64 v[38:39], v79
	v_mul_f64 v[50:51], v[2:3], v[48:49]
	v_mul_f64 v[32:33], v[54:55], v[32:33]
	;; [unrolled: 1-line block ×3, first 2 shown]
	s_waitcnt vmcnt(0) lgkmcnt(1)
	v_mul_f64 v[62:63], v[26:27], v[58:59]
	v_fma_f64 v[52:53], v[54:55], v[30:31], -v[28:29]
	v_fma_f64 v[28:29], v[44:45], v[34:35], -v[60:61]
	v_fma_f64 v[34:35], v[4:5], v[34:35], v[36:37]
	v_mul_f64 v[4:5], v[64:65], v[58:59]
	v_fma_f64 v[54:55], v[42:43], v[46:47], -v[50:51]
	v_fma_f64 v[50:51], v[84:85], v[30:31], v[32:33]
	v_fma_f64 v[36:37], v[2:3], v[46:47], v[48:49]
	v_fma_f64 v[42:43], v[64:65], v[56:57], -v[62:63]
	v_mov_b32_e32 v68, 3
	v_add_f64 v[2:3], v[52:53], -v[16:17]
	v_add_f64 v[32:33], v[8:9], -v[10:11]
	v_fma_f64 v[46:47], v[26:27], v[56:57], v[4:5]
	v_add_f64 v[56:57], v[16:17], v[24:25]
	v_add_f64 v[30:31], v[54:55], -v[24:25]
	v_add_f64 v[64:65], v[50:51], -v[36:37]
	;; [unrolled: 1-line block ×5, first 2 shown]
	v_lshlrev_b32_sdwa v82, v68, v88 dst_sel:DWORD dst_unused:UNUSED_PAD src0_sel:DWORD src1_sel:BYTE_0
	v_add_f64 v[83:84], v[12:13], -v[18:19]
	v_fma_f64 v[60:61], v[56:57], -0.5, v[0:1]
	v_add_f64 v[4:5], v[20:21], v[14:15]
	v_add_f64 v[2:3], v[2:3], v[30:31]
	;; [unrolled: 1-line block ×7, first 2 shown]
	v_fma_f64 v[68:69], v[64:65], s[10:11], v[60:61]
	v_add_f64 v[99:100], v[8:9], v[28:29]
	v_fma_f64 v[4:5], v[4:5], -0.5, v[46:47]
	v_add_f64 v[58:59], v[8:9], -v[28:29]
	v_fma_f64 v[44:45], v[44:45], -0.5, v[42:43]
	v_add_f64 v[66:67], v[10:11], -v[6:7]
	v_add_f64 v[48:49], v[48:49], v[10:11]
	v_add_f64 v[87:88], v[20:21], -v[14:15]
	v_fma_f64 v[68:69], v[83:84], s[6:7], v[68:69]
	v_add_f64 v[91:92], v[52:53], v[54:55]
	v_add_f64 v[93:94], v[16:17], -v[52:53]
	v_add_f64 v[97:98], v[24:25], -v[54:55]
	v_fma_f64 v[42:43], v[99:100], -0.5, v[42:43]
	v_add_f64 v[62:63], v[22:23], -v[34:35]
	v_fma_f64 v[56:57], v[58:59], s[2:3], v[4:5]
	v_add_f64 v[30:31], v[0:1], v[52:53]
	v_fma_f64 v[101:102], v[2:3], s[16:17], v[68:69]
	v_fma_f64 v[68:69], v[95:96], -0.5, v[46:47]
	v_add3_u32 v82, v89, v82, v76
	v_add_f64 v[89:90], v[48:49], v[6:7]
	v_fma_f64 v[0:1], v[91:92], -0.5, v[0:1]
	v_add_f64 v[91:92], v[93:94], v[97:98]
	v_add_f64 v[8:9], v[10:11], -v[8:9]
	v_add_f64 v[6:7], v[6:7], -v[28:29]
	;; [unrolled: 1-line block ×4, first 2 shown]
	v_fma_f64 v[97:98], v[66:67], s[10:11], v[68:69]
	v_fma_f64 v[99:100], v[87:88], s[10:11], v[42:43]
	;; [unrolled: 1-line block ×6, first 2 shown]
	v_add_f64 v[6:7], v[8:9], v[6:7]
	v_fma_f64 v[8:9], v[87:88], s[2:3], v[42:43]
	v_add_f64 v[10:11], v[10:11], v[93:94]
	v_fma_f64 v[42:43], v[66:67], s[2:3], v[68:69]
	v_fma_f64 v[68:69], v[58:59], s[4:5], v[97:98]
	v_fma_f64 v[4:5], v[58:59], s[10:11], v[4:5]
	v_fma_f64 v[93:94], v[62:63], s[4:5], v[99:100]
	v_fma_f64 v[44:45], v[87:88], s[4:5], v[44:45]
	v_add_f64 v[30:31], v[30:31], v[16:17]
	v_fma_f64 v[85:86], v[87:88], s[6:7], v[85:86]
	v_fma_f64 v[48:49], v[26:27], s[16:17], v[56:57]
	;; [unrolled: 1-line block ×11, first 2 shown]
	v_add_f64 v[30:31], v[30:31], v[24:25]
	v_fma_f64 v[56:57], v[32:33], s[16:17], v[85:86]
	v_mul_f64 v[85:86], v[48:49], s[6:7]
	v_fma_f64 v[0:1], v[64:65], s[4:5], v[0:1]
	v_fma_f64 v[68:69], v[6:7], s[16:17], v[8:9]
	;; [unrolled: 1-line block ×3, first 2 shown]
	v_mul_f64 v[8:9], v[58:59], s[10:11]
	v_fma_f64 v[66:67], v[26:27], s[16:17], v[4:5]
	v_mul_f64 v[4:5], v[60:61], s[16:17]
	v_fma_f64 v[6:7], v[83:84], s[4:5], v[95:96]
	v_mul_f64 v[10:11], v[62:63], s[18:19]
	v_add_f64 v[30:31], v[30:31], v[54:55]
	v_add_f64 v[26:27], v[89:90], v[28:29]
	v_fma_f64 v[28:29], v[56:57], s[18:19], v[85:86]
	v_fma_f64 v[32:33], v[91:92], s[16:17], v[87:88]
	;; [unrolled: 1-line block ×4, first 2 shown]
	v_fma_f64 v[4:5], v[64:65], s[10:11], -v[4:5]
	v_fma_f64 v[2:3], v[2:3], s[16:17], v[6:7]
	v_fma_f64 v[6:7], v[66:67], s[6:7], -v[10:11]
	v_add_f64 v[10:11], v[30:31], v[26:27]
	v_add_f64 v[42:43], v[101:102], v[28:29]
	v_add_f64 v[30:31], v[30:31], -v[26:27]
	v_add_f64 v[28:29], v[101:102], -v[28:29]
	v_add_f64 v[44:45], v[32:33], v[8:9]
	v_add_f64 v[8:9], v[32:33], -v[8:9]
	v_add_f64 v[32:33], v[0:1], v[4:5]
	v_add_f64 v[83:84], v[2:3], v[6:7]
	v_add_f64 v[0:1], v[0:1], -v[4:5]
	v_add_f64 v[26:27], v[2:3], -v[6:7]
	s_waitcnt lgkmcnt(0)
	s_barrier
	ds_write2_b64 v82, v[10:11], v[42:43] offset1:10
	ds_write2_b64 v82, v[44:45], v[32:33] offset0:20 offset1:30
	ds_write2_b64 v82, v[83:84], v[30:31] offset0:40 offset1:50
	;; [unrolled: 1-line block ×4, first 2 shown]
	s_waitcnt lgkmcnt(0)
	s_barrier
	v_add_u32_e32 v83, 0xc00, v78
	ds_read_b64 v[32:33], v79
	ds_read_b64 v[30:31], v80
	;; [unrolled: 1-line block ×3, first 2 shown]
	ds_read2_b64 v[8:11], v70 offset0:44 offset1:134
	ds_read2_b64 v[4:7], v83 offset0:96 offset1:216
	;; [unrolled: 1-line block ×3, first 2 shown]
                                        ; implicit-def: $vgpr42_vgpr43
                                        ; implicit-def: $vgpr44_vgpr45
	s_and_saveexec_b64 s[20:21], s[0:1]
	s_cbranch_execz .LBB0_15
; %bb.14:
	ds_read_b64 v[26:27], v77
	ds_read_b64 v[44:45], v78 offset:4560
	ds_read_b64 v[42:43], v78 offset:6960
.LBB0_15:
	s_or_b64 exec, exec, s[20:21]
	v_add_f64 v[84:85], v[12:13], v[18:19]
	v_add_f64 v[86:87], v[50:51], v[36:37]
	;; [unrolled: 1-line block ×3, first 2 shown]
	v_add_f64 v[52:53], v[52:53], -v[54:55]
	v_add_f64 v[22:23], v[46:47], v[22:23]
	v_add_f64 v[16:17], v[16:17], -v[24:25]
	v_add_f64 v[24:25], v[50:51], -v[12:13]
	;; [unrolled: 1-line block ×3, first 2 shown]
	v_fma_f64 v[84:85], v[84:85], -0.5, v[38:39]
	v_fma_f64 v[38:39], v[86:87], -0.5, v[38:39]
	v_add_f64 v[50:51], v[12:13], -v[50:51]
	v_mul_f64 v[46:47], v[56:57], s[4:5]
	v_mul_f64 v[56:57], v[68:69], s[2:3]
	v_add_f64 v[12:13], v[88:89], v[12:13]
	v_add_f64 v[20:21], v[22:23], v[20:21]
	v_add_f64 v[86:87], v[18:19], -v[36:37]
	v_fma_f64 v[68:69], v[52:53], s[2:3], v[84:85]
	v_fma_f64 v[84:85], v[52:53], s[10:11], v[84:85]
	;; [unrolled: 1-line block ×4, first 2 shown]
	v_add_f64 v[22:23], v[24:25], v[54:55]
	v_add_f64 v[12:13], v[12:13], v[18:19]
	;; [unrolled: 1-line block ×4, first 2 shown]
	v_fma_f64 v[18:19], v[16:17], s[4:5], v[68:69]
	v_fma_f64 v[16:17], v[16:17], s[6:7], v[84:85]
	;; [unrolled: 1-line block ×4, first 2 shown]
	v_mul_f64 v[20:21], v[64:65], s[16:17]
	v_mul_f64 v[52:53], v[66:67], s[18:19]
	v_add_f64 v[12:13], v[12:13], v[36:37]
	v_add_f64 v[14:15], v[14:15], v[34:35]
	v_fma_f64 v[18:19], v[22:23], s[16:17], v[18:19]
	v_fma_f64 v[34:35], v[48:49], s[18:19], v[46:47]
	;; [unrolled: 1-line block ×6, first 2 shown]
	v_fma_f64 v[20:21], v[60:61], s[2:3], -v[20:21]
	v_fma_f64 v[38:39], v[62:63], s[4:5], -v[52:53]
	v_add_f64 v[46:47], v[12:13], v[14:15]
	v_add_f64 v[48:49], v[18:19], v[34:35]
	v_add_f64 v[12:13], v[12:13], -v[14:15]
	v_add_f64 v[14:15], v[18:19], -v[34:35]
	s_waitcnt lgkmcnt(0)
	v_add_f64 v[50:51], v[22:23], v[36:37]
	v_add_f64 v[52:53], v[24:25], v[20:21]
	;; [unrolled: 1-line block ×3, first 2 shown]
	v_add_f64 v[18:19], v[22:23], -v[36:37]
	v_add_f64 v[20:21], v[24:25], -v[20:21]
	;; [unrolled: 1-line block ×3, first 2 shown]
	s_barrier
	ds_write2_b64 v82, v[46:47], v[48:49] offset1:10
	ds_write2_b64 v82, v[50:51], v[52:53] offset0:20 offset1:30
	ds_write2_b64 v82, v[54:55], v[12:13] offset0:40 offset1:50
	;; [unrolled: 1-line block ×4, first 2 shown]
	s_waitcnt lgkmcnt(0)
	s_barrier
	ds_read2_b64 v[20:23], v70 offset0:44 offset1:134
	ds_read2_b64 v[12:15], v83 offset0:96 offset1:216
	;; [unrolled: 1-line block ×3, first 2 shown]
	ds_read_b64 v[50:51], v79
	ds_read_b64 v[48:49], v80
	;; [unrolled: 1-line block ×3, first 2 shown]
                                        ; implicit-def: $vgpr24_vgpr25
                                        ; implicit-def: $vgpr46_vgpr47
	s_and_saveexec_b64 s[2:3], s[0:1]
	s_cbranch_execz .LBB0_17
; %bb.16:
	ds_read_b64 v[34:35], v77
	ds_read_b64 v[46:47], v78 offset:4560
	ds_read_b64 v[24:25], v78 offset:6960
.LBB0_17:
	s_or_b64 exec, exec, s[2:3]
	v_lshlrev_b32_e32 v60, 1, v72
	v_mov_b32_e32 v61, 0
	v_lshlrev_b64 v[36:37], 4, v[60:61]
	v_mov_b32_e32 v62, s9
	v_add_co_u32_e64 v36, s[2:3], s8, v36
	v_addc_co_u32_e64 v37, s[2:3], v62, v37, s[2:3]
	v_add_u32_e32 v60, -10, v72
	v_cmp_gt_u32_e64 s[2:3], 10, v72
	v_cndmask_b32_e64 v66, v60, v74, s[2:3]
	v_lshlrev_b32_e32 v60, 1, v66
	v_lshlrev_b64 v[60:61], 4, v[60:61]
	global_load_dwordx4 v[52:55], v[36:37], off offset:1456
	global_load_dwordx4 v[56:59], v[36:37], off offset:1440
	v_add_co_u32_e64 v60, s[2:3], s8, v60
	v_addc_co_u32_e64 v61, s[2:3], v62, v61, s[2:3]
	global_load_dwordx4 v[84:87], v[60:61], off offset:1456
	global_load_dwordx4 v[62:65], v[60:61], off offset:1440
	v_lshrrev_b16_e32 v60, 2, v75
	v_mul_u32_u24_e32 v60, 0x147b, v60
	v_lshrrev_b32_e32 v60, 17, v60
	v_mul_lo_u16_e32 v61, 0x64, v60
	v_sub_u16_e32 v61, v75, v61
	v_lshlrev_b32_e32 v67, 5, v61
	global_load_dwordx4 v[88:91], v67, s[8:9] offset:1456
	global_load_dwordx4 v[92:95], v67, s[8:9] offset:1440
	v_lshrrev_b16_e32 v67, 2, v73
	v_mul_u32_u24_e32 v67, 0x147b, v67
	v_lshrrev_b32_e32 v67, 17, v67
	v_mul_lo_u16_e32 v67, 0x64, v67
	v_sub_u16_e32 v116, v73, v67
	v_lshlrev_b32_e32 v67, 5, v116
	global_load_dwordx4 v[96:99], v67, s[8:9] offset:1440
	global_load_dwordx4 v[100:103], v67, s[8:9] offset:1456
	s_movk_i32 s10, 0x960
	v_mad_u32_u24 v60, v60, s10, 0
	v_lshlrev_b32_e32 v61, 3, v61
	v_add3_u32 v83, v60, v61, v76
	v_mov_b32_e32 v67, 0x960
	v_cmp_lt_u32_e64 s[2:3], 9, v72
	v_cndmask_b32_e64 v67, 0, v67, s[2:3]
	v_add_u32_e32 v67, 0, v67
	v_lshlrev_b32_e32 v66, 3, v66
	v_add3_u32 v82, v67, v66, v76
	s_mov_b32 s4, 0xe8584caa
	s_mov_b32 s5, 0x3febb67a
	;; [unrolled: 1-line block ×4, first 2 shown]
	s_waitcnt vmcnt(0) lgkmcnt(0)
	s_barrier
	v_mul_f64 v[68:69], v[14:15], v[54:55]
	v_mul_f64 v[60:61], v[20:21], v[58:59]
	;; [unrolled: 1-line block ×8, first 2 shown]
	v_fma_f64 v[66:67], v[8:9], v[56:57], -v[60:61]
	v_fma_f64 v[70:71], v[20:21], v[56:57], v[58:59]
	v_fma_f64 v[68:69], v[6:7], v[52:53], -v[68:69]
	v_mul_f64 v[110:111], v[18:19], v[90:91]
	v_mul_f64 v[108:109], v[12:13], v[94:95]
	;; [unrolled: 1-line block ×4, first 2 shown]
	v_fma_f64 v[52:53], v[14:15], v[52:53], v[54:55]
	v_fma_f64 v[60:61], v[10:11], v[62:63], -v[104:105]
	v_fma_f64 v[64:65], v[22:23], v[62:63], v[64:65]
	v_mul_f64 v[112:113], v[46:47], v[98:99]
	v_mul_f64 v[114:115], v[24:25], v[102:103]
	;; [unrolled: 1-line block ×4, first 2 shown]
	v_fma_f64 v[62:63], v[0:1], v[84:85], -v[106:107]
	v_fma_f64 v[20:21], v[4:5], v[92:93], -v[108:109]
	v_fma_f64 v[54:55], v[12:13], v[92:93], v[94:95]
	v_fma_f64 v[22:23], v[2:3], v[88:89], -v[110:111]
	v_fma_f64 v[12:13], v[18:19], v[88:89], v[90:91]
	v_fma_f64 v[18:19], v[44:45], v[96:97], -v[112:113]
	v_fma_f64 v[56:57], v[42:43], v[100:101], -v[114:115]
	v_fma_f64 v[14:15], v[16:17], v[84:85], v[86:87]
	v_fma_f64 v[58:59], v[46:47], v[96:97], v[98:99]
	;; [unrolled: 1-line block ×3, first 2 shown]
	v_add_f64 v[2:3], v[66:67], v[68:69]
	v_add_f64 v[8:9], v[60:61], v[62:63]
	;; [unrolled: 1-line block ×5, first 2 shown]
	v_add_f64 v[4:5], v[70:71], -v[52:53]
	v_add_f64 v[10:11], v[64:65], -v[14:15]
	v_add_f64 v[24:25], v[28:29], v[20:21]
	v_add_f64 v[44:45], v[54:55], -v[12:13]
	v_add_f64 v[46:47], v[26:27], v[18:19]
	v_add_f64 v[86:87], v[58:59], -v[16:17]
	v_fma_f64 v[2:3], v[2:3], -0.5, v[32:33]
	v_fma_f64 v[8:9], v[8:9], -0.5, v[30:31]
	;; [unrolled: 1-line block ×4, first 2 shown]
	v_add_f64 v[6:7], v[30:31], v[60:61]
	v_add_f64 v[0:1], v[0:1], v[68:69]
	;; [unrolled: 1-line block ×4, first 2 shown]
	v_fma_f64 v[32:33], v[4:5], s[4:5], v[2:3]
	v_fma_f64 v[2:3], v[4:5], s[6:7], v[2:3]
	;; [unrolled: 1-line block ×8, first 2 shown]
	v_add_f64 v[6:7], v[6:7], v[62:63]
	v_lshlrev_b32_e32 v84, 3, v116
	ds_write2_b64 v78, v[0:1], v[32:33] offset1:100
	ds_write_b64 v78, v[2:3] offset:1600
	ds_write2_b64 v82, v[6:7], v[4:5] offset1:100
	ds_write_b64 v82, v[8:9] offset:1600
	;; [unrolled: 2-line block ×3, first 2 shown]
	s_and_saveexec_b64 s[2:3], s[0:1]
	s_cbranch_execz .LBB0_19
; %bb.18:
	v_add3_u32 v0, 0, v84, v76
	v_add_u32_e32 v1, 0x1000, v0
	ds_write2_b64 v1, v[24:25], v[28:29] offset0:88 offset1:188
	ds_write_b64 v0, v[26:27] offset:6400
.LBB0_19:
	s_or_b64 exec, exec, s[2:3]
	v_add_u32_e32 v0, 0x800, v78
	s_waitcnt lgkmcnt(0)
	s_barrier
	ds_read2_b64 v[4:7], v0 offset0:44 offset1:134
	v_add_u32_e32 v0, 0xc00, v78
	v_add_u32_e32 v8, 0x1400, v78
	ds_read2_b64 v[0:3], v0 offset0:96 offset1:216
	ds_read2_b64 v[8:11], v8 offset0:50 offset1:140
	ds_read_b64 v[46:47], v79
	ds_read_b64 v[44:45], v80
	;; [unrolled: 1-line block ×3, first 2 shown]
	s_and_saveexec_b64 s[2:3], s[0:1]
	s_cbranch_execz .LBB0_21
; %bb.20:
	ds_read_b64 v[24:25], v77
	ds_read_b64 v[28:29], v78 offset:4560
	ds_read_b64 v[26:27], v78 offset:6960
.LBB0_21:
	s_or_b64 exec, exec, s[2:3]
	v_add_f64 v[30:31], v[70:71], v[52:53]
	v_add_f64 v[32:33], v[50:51], v[70:71]
	v_add_f64 v[66:67], v[66:67], -v[68:69]
	v_add_f64 v[68:69], v[64:65], v[14:15]
	v_add_f64 v[60:61], v[60:61], -v[62:63]
	v_add_f64 v[62:63], v[54:55], v[12:13]
	s_mov_b32 s2, 0xe8584caa
	s_mov_b32 s3, 0xbfebb67a
	v_fma_f64 v[30:31], v[30:31], -0.5, v[50:51]
	v_add_f64 v[50:51], v[48:49], v[64:65]
	v_add_f64 v[64:65], v[58:59], v[16:17]
	s_mov_b32 s5, 0x3febb67a
	s_mov_b32 s4, s2
	v_add_f64 v[52:53], v[32:33], v[52:53]
	v_fma_f64 v[32:33], v[68:69], -0.5, v[48:49]
	v_add_f64 v[20:21], v[20:21], -v[22:23]
	v_fma_f64 v[48:49], v[66:67], s[2:3], v[30:31]
	v_fma_f64 v[66:67], v[66:67], s[4:5], v[30:31]
	v_add_f64 v[30:31], v[38:39], v[54:55]
	v_add_f64 v[22:23], v[34:35], v[58:59]
	v_fma_f64 v[54:55], v[64:65], -0.5, v[34:35]
	v_add_f64 v[18:19], v[18:19], -v[56:57]
	v_fma_f64 v[38:39], v[62:63], -0.5, v[38:39]
	v_add_f64 v[14:15], v[50:51], v[14:15]
	v_fma_f64 v[50:51], v[60:61], s[2:3], v[32:33]
	v_fma_f64 v[56:57], v[60:61], s[4:5], v[32:33]
	v_add_f64 v[12:13], v[30:31], v[12:13]
	v_add_f64 v[30:31], v[22:23], v[16:17]
	s_waitcnt lgkmcnt(0)
	v_fma_f64 v[34:35], v[18:19], s[2:3], v[54:55]
	v_fma_f64 v[32:33], v[18:19], s[4:5], v[54:55]
	v_fma_f64 v[58:59], v[20:21], s[2:3], v[38:39]
	v_fma_f64 v[20:21], v[20:21], s[4:5], v[38:39]
	s_barrier
	ds_write2_b64 v78, v[52:53], v[48:49] offset1:100
	ds_write_b64 v78, v[66:67] offset:1600
	ds_write2_b64 v82, v[14:15], v[50:51] offset1:100
	ds_write_b64 v82, v[56:57] offset:1600
	;; [unrolled: 2-line block ×3, first 2 shown]
	s_and_saveexec_b64 s[2:3], s[0:1]
	s_cbranch_execz .LBB0_23
; %bb.22:
	v_add3_u32 v12, 0, v84, v76
	v_add_u32_e32 v13, 0x1000, v12
	ds_write2_b64 v13, v[30:31], v[34:35] offset0:88 offset1:188
	ds_write_b64 v12, v[32:33] offset:6400
.LBB0_23:
	s_or_b64 exec, exec, s[2:3]
	v_add_u32_e32 v12, 0x800, v78
	s_waitcnt lgkmcnt(0)
	s_barrier
	ds_read2_b64 v[16:19], v12 offset0:44 offset1:134
	v_add_u32_e32 v12, 0xc00, v78
	v_add_u32_e32 v20, 0x1400, v78
	ds_read2_b64 v[12:15], v12 offset0:96 offset1:216
	ds_read2_b64 v[20:23], v20 offset0:50 offset1:140
	ds_read_b64 v[52:53], v79
	ds_read_b64 v[50:51], v80
	;; [unrolled: 1-line block ×3, first 2 shown]
	s_and_saveexec_b64 s[2:3], s[0:1]
	s_cbranch_execz .LBB0_25
; %bb.24:
	ds_read_b64 v[30:31], v77
	ds_read_b64 v[34:35], v78 offset:4560
	ds_read_b64 v[32:33], v78 offset:6960
.LBB0_25:
	s_or_b64 exec, exec, s[2:3]
	s_and_saveexec_b64 s[2:3], vcc
	s_cbranch_execz .LBB0_28
; %bb.26:
	v_lshlrev_b32_e32 v38, 1, v75
	v_mov_b32_e32 v39, 0
	v_lshlrev_b64 v[54:55], 4, v[38:39]
	v_mov_b32_e32 v56, s9
	v_add_co_u32_e32 v38, vcc, s8, v54
	v_addc_co_u32_e32 v76, vcc, v56, v55, vcc
	v_add_co_u32_e32 v70, vcc, 0x1220, v38
	v_addc_co_u32_e32 v71, vcc, 0, v76, vcc
	v_add_co_u32_e32 v82, vcc, 0x1000, v38
	v_lshlrev_b32_e32 v38, 1, v74
	v_lshlrev_b64 v[54:55], 4, v[38:39]
	s_movk_i32 s4, 0x1220
	v_add_co_u32_e64 v38, s[2:3], s8, v54
	v_addc_co_u32_e64 v64, s[2:3], v56, v55, s[2:3]
	v_add_co_u32_e64 v74, s[2:3], s4, v38
	v_addc_co_u32_e64 v75, s[2:3], 0, v64, s[2:3]
	v_add_co_u32_e64 v62, s[2:3], s4, v36
	s_movk_i32 s6, 0x1000
	v_addc_co_u32_e64 v63, s[2:3], 0, v37, s[2:3]
	v_add_co_u32_e64 v36, s[2:3], s6, v36
	v_addc_co_u32_e64 v37, s[2:3], 0, v37, s[2:3]
	global_load_dwordx4 v[54:57], v[36:37], off offset:544
	global_load_dwordx4 v[58:61], v[62:63], off offset:16
	v_add_co_u32_e64 v36, s[2:3], s6, v38
	v_addc_co_u32_e64 v37, s[2:3], 0, v64, s[2:3]
	global_load_dwordx4 v[62:65], v[36:37], off offset:544
	global_load_dwordx4 v[66:69], v[74:75], off offset:16
	v_addc_co_u32_e32 v83, vcc, 0, v76, vcc
	global_load_dwordx4 v[74:77], v[82:83], off offset:544
	global_load_dwordx4 v[78:81], v[70:71], off offset:16
	v_mad_u64_u32 v[36:37], s[2:3], s12, v72, 0
	s_mov_b32 s2, 0xe8584caa
	s_mov_b32 s3, 0x3febb67a
	v_mad_u64_u32 v[37:38], s[10:11], s13, v72, v[37:38]
	s_mov_b32 s5, 0xbfebb67a
	s_mov_b32 s4, s2
	v_add_u32_e32 v38, 0x12c, v72
	s_movk_i32 s7, 0x258
	s_waitcnt vmcnt(5) lgkmcnt(5)
	v_mul_f64 v[70:71], v[16:17], v[56:57]
	s_waitcnt vmcnt(4) lgkmcnt(4)
	v_mul_f64 v[82:83], v[14:15], v[60:61]
	v_mul_f64 v[56:57], v[4:5], v[56:57]
	;; [unrolled: 1-line block ×3, first 2 shown]
	s_waitcnt vmcnt(3)
	v_mul_f64 v[84:85], v[18:19], v[64:65]
	s_waitcnt vmcnt(2) lgkmcnt(3)
	v_mul_f64 v[86:87], v[20:21], v[68:69]
	v_mul_f64 v[64:65], v[6:7], v[64:65]
	v_mul_f64 v[68:69], v[8:9], v[68:69]
	s_waitcnt vmcnt(1)
	v_mul_f64 v[88:89], v[12:13], v[76:77]
	v_mul_f64 v[76:77], v[0:1], v[76:77]
	v_fma_f64 v[16:17], v[16:17], v[54:55], v[56:57]
	v_fma_f64 v[14:15], v[14:15], v[58:59], v[60:61]
	s_waitcnt vmcnt(0)
	v_mul_f64 v[90:91], v[22:23], v[80:81]
	v_fma_f64 v[4:5], v[4:5], v[54:55], -v[70:71]
	v_fma_f64 v[2:3], v[2:3], v[58:59], -v[82:83]
	;; [unrolled: 1-line block ×4, first 2 shown]
	v_fma_f64 v[8:9], v[18:19], v[62:63], v[64:65]
	v_mul_f64 v[80:81], v[10:11], v[80:81]
	v_fma_f64 v[18:19], v[20:21], v[66:67], v[68:69]
	v_fma_f64 v[12:13], v[12:13], v[74:75], v[76:77]
	v_add_f64 v[56:57], v[16:17], v[14:15]
	v_fma_f64 v[0:1], v[0:1], v[74:75], -v[88:89]
	v_fma_f64 v[10:11], v[10:11], v[78:79], -v[90:91]
	s_waitcnt lgkmcnt(2)
	v_add_f64 v[58:59], v[52:53], v[16:17]
	v_add_f64 v[60:61], v[4:5], v[2:3]
	s_waitcnt lgkmcnt(1)
	v_add_f64 v[68:69], v[50:51], v[8:9]
	v_add_f64 v[70:71], v[6:7], v[54:55]
	v_fma_f64 v[20:21], v[22:23], v[78:79], v[80:81]
	v_add_f64 v[22:23], v[4:5], -v[2:3]
	v_add_f64 v[62:63], v[16:17], -v[14:15]
	v_add_f64 v[16:17], v[8:9], v[18:19]
	s_waitcnt lgkmcnt(0)
	v_add_f64 v[80:81], v[48:49], v[12:13]
	v_fma_f64 v[52:53], v[56:57], -0.5, v[52:53]
	v_add_f64 v[64:65], v[46:47], v[4:5]
	v_add_f64 v[76:77], v[0:1], -v[10:11]
	v_add_f64 v[82:83], v[0:1], v[10:11]
	v_add_f64 v[0:1], v[42:43], v[0:1]
	v_add_f64 v[66:67], v[6:7], -v[54:55]
	v_add_f64 v[74:75], v[8:9], -v[18:19]
	v_add_f64 v[6:7], v[44:45], v[6:7]
	v_add_f64 v[4:5], v[58:59], v[14:15]
	v_fma_f64 v[58:59], v[60:61], -0.5, v[46:47]
	v_add_f64 v[8:9], v[68:69], v[18:19]
	v_fma_f64 v[18:19], v[70:71], -0.5, v[44:45]
	v_add_f64 v[78:79], v[12:13], v[20:21]
	v_add_f64 v[84:85], v[12:13], -v[20:21]
	v_fma_f64 v[14:15], v[16:17], -0.5, v[50:51]
	v_add_f64 v[12:13], v[80:81], v[20:21]
	v_fma_f64 v[16:17], v[22:23], s[2:3], v[52:53]
	v_fma_f64 v[20:21], v[22:23], s[4:5], v[52:53]
	v_lshlrev_b64 v[22:23], 4, v[36:37]
	v_mad_u64_u32 v[36:37], s[10:11], s12, v38, 0
	v_add_f64 v[2:3], v[64:65], v[2:3]
	v_add_f64 v[10:11], v[0:1], v[10:11]
	v_mad_u64_u32 v[37:38], s[10:11], s13, v38, v[37:38]
	v_mov_b32_e32 v1, s15
	v_add_co_u32_e32 v0, vcc, s14, v40
	v_add_u32_e32 v38, 0x258, v72
	v_add_f64 v[6:7], v[6:7], v[54:55]
	v_fma_f64 v[54:55], v[82:83], -0.5, v[42:43]
	v_fma_f64 v[42:43], v[74:75], s[4:5], v[18:19]
	v_fma_f64 v[46:47], v[74:75], s[2:3], v[18:19]
	v_fma_f64 v[18:19], v[62:63], s[2:3], v[58:59]
	v_addc_co_u32_e32 v1, vcc, v1, v41, vcc
	v_mad_u64_u32 v[40:41], s[10:11], s12, v38, 0
	v_add_co_u32_e32 v22, vcc, v0, v22
	v_addc_co_u32_e32 v23, vcc, v1, v23, vcc
	global_store_dwordx4 v[22:23], v[2:5], off
	v_fma_f64 v[50:51], v[78:79], -0.5, v[48:49]
	v_lshlrev_b64 v[2:3], 4, v[36:37]
	v_mov_b32_e32 v4, v41
	v_mad_u64_u32 v[4:5], s[10:11], s13, v38, v[4:5]
	v_add_co_u32_e32 v2, vcc, v0, v2
	v_addc_co_u32_e32 v3, vcc, v1, v3, vcc
	global_store_dwordx4 v[2:3], v[18:21], off
	v_mov_b32_e32 v41, v4
	v_add_u32_e32 v18, 0x5a, v72
	v_mad_u64_u32 v[4:5], s[10:11], s12, v18, 0
	v_fma_f64 v[44:45], v[66:67], s[2:3], v[14:15]
	v_fma_f64 v[48:49], v[66:67], s[4:5], v[14:15]
	;; [unrolled: 1-line block ×3, first 2 shown]
	v_mad_u64_u32 v[18:19], s[10:11], s13, v18, v[5:6]
	v_add_u32_e32 v21, 0x186, v72
	v_lshlrev_b64 v[2:3], 4, v[40:41]
	v_mad_u64_u32 v[19:20], s[10:11], s12, v21, 0
	v_add_co_u32_e32 v2, vcc, v0, v2
	v_addc_co_u32_e32 v3, vcc, v1, v3, vcc
	v_mov_b32_e32 v5, v18
	global_store_dwordx4 v[2:3], v[14:17], off
	v_lshlrev_b64 v[2:3], 4, v[4:5]
	v_mov_b32_e32 v4, v20
	v_mad_u64_u32 v[4:5], s[10:11], s13, v21, v[4:5]
	v_add_co_u32_e32 v2, vcc, v0, v2
	v_addc_co_u32_e32 v3, vcc, v1, v3, vcc
	global_store_dwordx4 v[2:3], v[6:9], off
	v_mov_b32_e32 v20, v4
	v_add_u32_e32 v6, 0x2b2, v72
	v_mad_u64_u32 v[4:5], s[10:11], s12, v6, 0
	v_add_u32_e32 v7, 0xb4, v72
	s_mov_b32 s10, 0x1b4e81b5
	v_mul_hi_u32 v8, v7, s10
	v_mad_u64_u32 v[5:6], s[10:11], s13, v6, v[5:6]
	v_lshlrev_b64 v[2:3], 4, v[19:20]
	v_lshrrev_b32_e32 v6, 5, v8
	v_mad_u32_u24 v8, v6, s7, v7
	v_mad_u64_u32 v[6:7], s[10:11], s12, v8, 0
	v_add_co_u32_e32 v2, vcc, v0, v2
	v_addc_co_u32_e32 v3, vcc, v1, v3, vcc
	global_store_dwordx4 v[2:3], v[46:49], off
	v_lshlrev_b64 v[2:3], 4, v[4:5]
	v_mov_b32_e32 v4, v7
	v_mad_u64_u32 v[4:5], s[10:11], s13, v8, v[4:5]
	v_add_co_u32_e32 v2, vcc, v0, v2
	v_addc_co_u32_e32 v3, vcc, v1, v3, vcc
	v_mov_b32_e32 v7, v4
	global_store_dwordx4 v[2:3], v[42:45], off
	v_lshlrev_b64 v[2:3], 4, v[6:7]
	v_add_u32_e32 v6, 0x12c, v8
	v_mad_u64_u32 v[4:5], s[10:11], s12, v6, 0
	v_add_u32_e32 v8, 0x258, v8
	v_fma_f64 v[52:53], v[76:77], s[2:3], v[50:51]
	v_mad_u64_u32 v[5:6], s[10:11], s13, v6, v[5:6]
	v_mad_u64_u32 v[6:7], s[10:11], s12, v8, 0
	v_fma_f64 v[56:57], v[76:77], s[4:5], v[50:51]
	v_fma_f64 v[50:51], v[84:85], s[4:5], v[54:55]
	v_fma_f64 v[54:55], v[84:85], s[2:3], v[54:55]
	v_add_co_u32_e32 v2, vcc, v0, v2
	v_addc_co_u32_e32 v3, vcc, v1, v3, vcc
	global_store_dwordx4 v[2:3], v[10:13], off
	v_lshlrev_b64 v[2:3], 4, v[4:5]
	v_mov_b32_e32 v4, v7
	v_mad_u64_u32 v[4:5], s[10:11], s13, v8, v[4:5]
	v_add_co_u32_e32 v2, vcc, v0, v2
	v_addc_co_u32_e32 v3, vcc, v1, v3, vcc
	v_mov_b32_e32 v7, v4
	global_store_dwordx4 v[2:3], v[54:57], off
	v_lshlrev_b64 v[2:3], 4, v[6:7]
	v_add_co_u32_e32 v2, vcc, v0, v2
	v_addc_co_u32_e32 v3, vcc, v1, v3, vcc
	global_store_dwordx4 v[2:3], v[50:53], off
	s_and_b64 exec, exec, s[0:1]
	s_cbranch_execz .LBB0_28
; %bb.27:
	v_subrev_u32_e32 v2, 30, v72
	v_cndmask_b32_e64 v2, v2, v73, s[0:1]
	v_lshlrev_b32_e32 v38, 1, v2
	v_lshlrev_b64 v[2:3], 4, v[38:39]
	v_mov_b32_e32 v4, s9
	v_add_co_u32_e32 v2, vcc, s8, v2
	v_addc_co_u32_e32 v7, vcc, v4, v3, vcc
	v_add_co_u32_e32 v6, vcc, 0x1220, v2
	s_mov_b64 s[0:1], vcc
	v_add_co_u32_e32 v2, vcc, s6, v2
	v_addc_co_u32_e32 v3, vcc, 0, v7, vcc
	global_load_dwordx4 v[2:5], v[2:3], off offset:544
	v_addc_co_u32_e64 v7, vcc, 0, v7, s[0:1]
	global_load_dwordx4 v[6:9], v[6:7], off offset:16
	v_add_u32_e32 v20, 0x10e, v72
	v_add_u32_e32 v22, 0x23a, v72
	;; [unrolled: 1-line block ×3, first 2 shown]
	v_mad_u64_u32 v[10:11], s[0:1], s12, v20, 0
	v_mad_u64_u32 v[12:13], s[0:1], s12, v22, 0
	v_mad_u64_u32 v[14:15], s[0:1], s12, v23, 0
	v_mad_u64_u32 v[20:21], s[0:1], s13, v20, v[11:12]
	v_mad_u64_u32 v[21:22], s[0:1], s13, v22, v[13:14]
	v_mov_b32_e32 v11, v20
	v_mov_b32_e32 v13, v21
	v_lshlrev_b64 v[20:21], 4, v[12:13]
	s_waitcnt vmcnt(1)
	v_mul_f64 v[16:17], v[34:35], v[4:5]
	v_mul_f64 v[4:5], v[28:29], v[4:5]
	s_waitcnt vmcnt(0)
	v_mul_f64 v[18:19], v[32:33], v[8:9]
	v_mul_f64 v[8:9], v[26:27], v[8:9]
	v_fma_f64 v[16:17], v[28:29], v[2:3], -v[16:17]
	v_fma_f64 v[2:3], v[34:35], v[2:3], v[4:5]
	v_fma_f64 v[4:5], v[26:27], v[6:7], -v[18:19]
	v_fma_f64 v[6:7], v[32:33], v[6:7], v[8:9]
	v_mad_u64_u32 v[8:9], s[0:1], s13, v23, v[15:16]
	v_add_f64 v[12:13], v[24:25], v[16:17]
	v_add_f64 v[26:27], v[30:31], v[2:3]
	v_mov_b32_e32 v15, v8
	v_lshlrev_b64 v[8:9], 4, v[10:11]
	v_add_f64 v[10:11], v[16:17], v[4:5]
	v_add_f64 v[18:19], v[2:3], v[6:7]
	v_add_f64 v[22:23], v[2:3], -v[6:7]
	v_add_f64 v[16:17], v[16:17], -v[4:5]
	v_add_f64 v[2:3], v[12:13], v[4:5]
	v_add_f64 v[4:5], v[26:27], v[6:7]
	v_lshlrev_b64 v[14:15], 4, v[14:15]
	v_fma_f64 v[10:11], v[10:11], -0.5, v[24:25]
	v_fma_f64 v[18:19], v[18:19], -0.5, v[30:31]
	v_add_co_u32_e32 v24, vcc, v0, v8
	v_addc_co_u32_e32 v25, vcc, v1, v9, vcc
	v_fma_f64 v[6:7], v[22:23], s[2:3], v[10:11]
	v_fma_f64 v[8:9], v[16:17], s[4:5], v[18:19]
	;; [unrolled: 1-line block ×4, first 2 shown]
	v_add_co_u32_e32 v16, vcc, v0, v20
	v_addc_co_u32_e32 v17, vcc, v1, v21, vcc
	v_add_co_u32_e32 v0, vcc, v0, v14
	v_addc_co_u32_e32 v1, vcc, v1, v15, vcc
	global_store_dwordx4 v[24:25], v[2:5], off
	global_store_dwordx4 v[16:17], v[6:9], off
	;; [unrolled: 1-line block ×3, first 2 shown]
.LBB0_28:
	s_endpgm
	.section	.rodata,"a",@progbits
	.p2align	6, 0x0
	.amdhsa_kernel fft_rtc_fwd_len900_factors_10_10_3_3_wgs_180_tpt_90_halfLds_dp_ip_CI_sbrr_dirReg
		.amdhsa_group_segment_fixed_size 0
		.amdhsa_private_segment_fixed_size 0
		.amdhsa_kernarg_size 88
		.amdhsa_user_sgpr_count 6
		.amdhsa_user_sgpr_private_segment_buffer 1
		.amdhsa_user_sgpr_dispatch_ptr 0
		.amdhsa_user_sgpr_queue_ptr 0
		.amdhsa_user_sgpr_kernarg_segment_ptr 1
		.amdhsa_user_sgpr_dispatch_id 0
		.amdhsa_user_sgpr_flat_scratch_init 0
		.amdhsa_user_sgpr_private_segment_size 0
		.amdhsa_uses_dynamic_stack 0
		.amdhsa_system_sgpr_private_segment_wavefront_offset 0
		.amdhsa_system_sgpr_workgroup_id_x 1
		.amdhsa_system_sgpr_workgroup_id_y 0
		.amdhsa_system_sgpr_workgroup_id_z 0
		.amdhsa_system_sgpr_workgroup_info 0
		.amdhsa_system_vgpr_workitem_id 0
		.amdhsa_next_free_vgpr 117
		.amdhsa_next_free_sgpr 24
		.amdhsa_reserve_vcc 1
		.amdhsa_reserve_flat_scratch 0
		.amdhsa_float_round_mode_32 0
		.amdhsa_float_round_mode_16_64 0
		.amdhsa_float_denorm_mode_32 3
		.amdhsa_float_denorm_mode_16_64 3
		.amdhsa_dx10_clamp 1
		.amdhsa_ieee_mode 1
		.amdhsa_fp16_overflow 0
		.amdhsa_exception_fp_ieee_invalid_op 0
		.amdhsa_exception_fp_denorm_src 0
		.amdhsa_exception_fp_ieee_div_zero 0
		.amdhsa_exception_fp_ieee_overflow 0
		.amdhsa_exception_fp_ieee_underflow 0
		.amdhsa_exception_fp_ieee_inexact 0
		.amdhsa_exception_int_div_zero 0
	.end_amdhsa_kernel
	.text
.Lfunc_end0:
	.size	fft_rtc_fwd_len900_factors_10_10_3_3_wgs_180_tpt_90_halfLds_dp_ip_CI_sbrr_dirReg, .Lfunc_end0-fft_rtc_fwd_len900_factors_10_10_3_3_wgs_180_tpt_90_halfLds_dp_ip_CI_sbrr_dirReg
                                        ; -- End function
	.section	.AMDGPU.csdata,"",@progbits
; Kernel info:
; codeLenInByte = 8576
; NumSgprs: 28
; NumVgprs: 117
; ScratchSize: 0
; MemoryBound: 1
; FloatMode: 240
; IeeeMode: 1
; LDSByteSize: 0 bytes/workgroup (compile time only)
; SGPRBlocks: 3
; VGPRBlocks: 29
; NumSGPRsForWavesPerEU: 28
; NumVGPRsForWavesPerEU: 117
; Occupancy: 2
; WaveLimiterHint : 1
; COMPUTE_PGM_RSRC2:SCRATCH_EN: 0
; COMPUTE_PGM_RSRC2:USER_SGPR: 6
; COMPUTE_PGM_RSRC2:TRAP_HANDLER: 0
; COMPUTE_PGM_RSRC2:TGID_X_EN: 1
; COMPUTE_PGM_RSRC2:TGID_Y_EN: 0
; COMPUTE_PGM_RSRC2:TGID_Z_EN: 0
; COMPUTE_PGM_RSRC2:TIDIG_COMP_CNT: 0
	.type	__hip_cuid_8d506f71c7a5ad7e,@object ; @__hip_cuid_8d506f71c7a5ad7e
	.section	.bss,"aw",@nobits
	.globl	__hip_cuid_8d506f71c7a5ad7e
__hip_cuid_8d506f71c7a5ad7e:
	.byte	0                               ; 0x0
	.size	__hip_cuid_8d506f71c7a5ad7e, 1

	.ident	"AMD clang version 19.0.0git (https://github.com/RadeonOpenCompute/llvm-project roc-6.4.0 25133 c7fe45cf4b819c5991fe208aaa96edf142730f1d)"
	.section	".note.GNU-stack","",@progbits
	.addrsig
	.addrsig_sym __hip_cuid_8d506f71c7a5ad7e
	.amdgpu_metadata
---
amdhsa.kernels:
  - .args:
      - .actual_access:  read_only
        .address_space:  global
        .offset:         0
        .size:           8
        .value_kind:     global_buffer
      - .offset:         8
        .size:           8
        .value_kind:     by_value
      - .actual_access:  read_only
        .address_space:  global
        .offset:         16
        .size:           8
        .value_kind:     global_buffer
      - .actual_access:  read_only
        .address_space:  global
        .offset:         24
        .size:           8
        .value_kind:     global_buffer
      - .offset:         32
        .size:           8
        .value_kind:     by_value
      - .actual_access:  read_only
        .address_space:  global
        .offset:         40
        .size:           8
        .value_kind:     global_buffer
      - .actual_access:  read_only
        .address_space:  global
        .offset:         48
        .size:           8
        .value_kind:     global_buffer
      - .offset:         56
        .size:           4
        .value_kind:     by_value
      - .actual_access:  read_only
        .address_space:  global
        .offset:         64
        .size:           8
        .value_kind:     global_buffer
      - .actual_access:  read_only
        .address_space:  global
        .offset:         72
        .size:           8
        .value_kind:     global_buffer
      - .address_space:  global
        .offset:         80
        .size:           8
        .value_kind:     global_buffer
    .group_segment_fixed_size: 0
    .kernarg_segment_align: 8
    .kernarg_segment_size: 88
    .language:       OpenCL C
    .language_version:
      - 2
      - 0
    .max_flat_workgroup_size: 180
    .name:           fft_rtc_fwd_len900_factors_10_10_3_3_wgs_180_tpt_90_halfLds_dp_ip_CI_sbrr_dirReg
    .private_segment_fixed_size: 0
    .sgpr_count:     28
    .sgpr_spill_count: 0
    .symbol:         fft_rtc_fwd_len900_factors_10_10_3_3_wgs_180_tpt_90_halfLds_dp_ip_CI_sbrr_dirReg.kd
    .uniform_work_group_size: 1
    .uses_dynamic_stack: false
    .vgpr_count:     117
    .vgpr_spill_count: 0
    .wavefront_size: 64
amdhsa.target:   amdgcn-amd-amdhsa--gfx906
amdhsa.version:
  - 1
  - 2
...

	.end_amdgpu_metadata
